;; amdgpu-corpus repo=ROCm/rocFFT kind=compiled arch=gfx1030 opt=O3
	.text
	.amdgcn_target "amdgcn-amd-amdhsa--gfx1030"
	.amdhsa_code_object_version 6
	.protected	fft_rtc_fwd_len150_factors_10_5_3_wgs_60_tpt_5_halfLds_sp_ip_CI_unitstride_sbrr_C2R_dirReg ; -- Begin function fft_rtc_fwd_len150_factors_10_5_3_wgs_60_tpt_5_halfLds_sp_ip_CI_unitstride_sbrr_C2R_dirReg
	.globl	fft_rtc_fwd_len150_factors_10_5_3_wgs_60_tpt_5_halfLds_sp_ip_CI_unitstride_sbrr_C2R_dirReg
	.p2align	8
	.type	fft_rtc_fwd_len150_factors_10_5_3_wgs_60_tpt_5_halfLds_sp_ip_CI_unitstride_sbrr_C2R_dirReg,@function
fft_rtc_fwd_len150_factors_10_5_3_wgs_60_tpt_5_halfLds_sp_ip_CI_unitstride_sbrr_C2R_dirReg: ; @fft_rtc_fwd_len150_factors_10_5_3_wgs_60_tpt_5_halfLds_sp_ip_CI_unitstride_sbrr_C2R_dirReg
; %bb.0:
	s_load_dwordx4 s[8:11], s[4:5], 0x0
	v_mul_u32_u24_e32 v1, 0x3334, v0
	s_clause 0x1
	s_load_dwordx2 s[2:3], s[4:5], 0x50
	s_load_dwordx2 s[12:13], s[4:5], 0x18
	v_mov_b32_e32 v5, 0
	v_mov_b32_e32 v3, 0
	;; [unrolled: 1-line block ×3, first 2 shown]
	v_lshrrev_b32_e32 v1, 16, v1
	v_mad_u64_u32 v[1:2], null, s6, 12, v[1:2]
	v_mov_b32_e32 v2, v5
	v_mov_b32_e32 v10, v2
	;; [unrolled: 1-line block ×3, first 2 shown]
	s_waitcnt lgkmcnt(0)
	v_cmp_lt_u64_e64 s0, s[10:11], 2
	s_and_b32 vcc_lo, exec_lo, s0
	s_cbranch_vccnz .LBB0_8
; %bb.1:
	s_load_dwordx2 s[0:1], s[4:5], 0x10
	v_mov_b32_e32 v3, 0
	v_mov_b32_e32 v8, v2
	s_add_u32 s6, s12, 8
	v_mov_b32_e32 v4, 0
	v_mov_b32_e32 v7, v1
	s_addc_u32 s7, s13, 0
	s_mov_b64 s[16:17], 1
	s_waitcnt lgkmcnt(0)
	s_add_u32 s14, s0, 8
	s_addc_u32 s15, s1, 0
.LBB0_2:                                ; =>This Inner Loop Header: Depth=1
	s_load_dwordx2 s[18:19], s[14:15], 0x0
                                        ; implicit-def: $vgpr9_vgpr10
	s_mov_b32 s0, exec_lo
	s_waitcnt lgkmcnt(0)
	v_or_b32_e32 v6, s19, v8
	v_cmpx_ne_u64_e32 0, v[5:6]
	s_xor_b32 s1, exec_lo, s0
	s_cbranch_execz .LBB0_4
; %bb.3:                                ;   in Loop: Header=BB0_2 Depth=1
	v_cvt_f32_u32_e32 v2, s18
	v_cvt_f32_u32_e32 v6, s19
	s_sub_u32 s0, 0, s18
	s_subb_u32 s20, 0, s19
	v_fmac_f32_e32 v2, 0x4f800000, v6
	v_rcp_f32_e32 v2, v2
	v_mul_f32_e32 v2, 0x5f7ffffc, v2
	v_mul_f32_e32 v6, 0x2f800000, v2
	v_trunc_f32_e32 v6, v6
	v_fmac_f32_e32 v2, 0xcf800000, v6
	v_cvt_u32_f32_e32 v6, v6
	v_cvt_u32_f32_e32 v2, v2
	v_mul_lo_u32 v9, s0, v6
	v_mul_hi_u32 v10, s0, v2
	v_mul_lo_u32 v11, s20, v2
	v_add_nc_u32_e32 v9, v10, v9
	v_mul_lo_u32 v10, s0, v2
	v_add_nc_u32_e32 v9, v9, v11
	v_mul_hi_u32 v11, v2, v10
	v_mul_lo_u32 v12, v2, v9
	v_mul_hi_u32 v13, v2, v9
	v_mul_hi_u32 v14, v6, v10
	v_mul_lo_u32 v10, v6, v10
	v_mul_hi_u32 v15, v6, v9
	v_mul_lo_u32 v9, v6, v9
	v_add_co_u32 v11, vcc_lo, v11, v12
	v_add_co_ci_u32_e32 v12, vcc_lo, 0, v13, vcc_lo
	v_add_co_u32 v10, vcc_lo, v11, v10
	v_add_co_ci_u32_e32 v10, vcc_lo, v12, v14, vcc_lo
	v_add_co_ci_u32_e32 v11, vcc_lo, 0, v15, vcc_lo
	v_add_co_u32 v9, vcc_lo, v10, v9
	v_add_co_ci_u32_e32 v10, vcc_lo, 0, v11, vcc_lo
	v_add_co_u32 v2, vcc_lo, v2, v9
	v_add_co_ci_u32_e32 v6, vcc_lo, v6, v10, vcc_lo
	v_mul_hi_u32 v9, s0, v2
	v_mul_lo_u32 v11, s20, v2
	v_mul_lo_u32 v10, s0, v6
	v_add_nc_u32_e32 v9, v9, v10
	v_mul_lo_u32 v10, s0, v2
	v_add_nc_u32_e32 v9, v9, v11
	v_mul_hi_u32 v11, v2, v10
	v_mul_lo_u32 v12, v2, v9
	v_mul_hi_u32 v13, v2, v9
	v_mul_hi_u32 v14, v6, v10
	v_mul_lo_u32 v10, v6, v10
	v_mul_hi_u32 v15, v6, v9
	v_mul_lo_u32 v9, v6, v9
	v_add_co_u32 v11, vcc_lo, v11, v12
	v_add_co_ci_u32_e32 v12, vcc_lo, 0, v13, vcc_lo
	v_add_co_u32 v10, vcc_lo, v11, v10
	v_add_co_ci_u32_e32 v10, vcc_lo, v12, v14, vcc_lo
	v_add_co_ci_u32_e32 v11, vcc_lo, 0, v15, vcc_lo
	v_add_co_u32 v9, vcc_lo, v10, v9
	v_add_co_ci_u32_e32 v10, vcc_lo, 0, v11, vcc_lo
	v_add_co_u32 v2, vcc_lo, v2, v9
	v_add_co_ci_u32_e32 v6, vcc_lo, v6, v10, vcc_lo
	v_mul_hi_u32 v15, v7, v2
	v_mad_u64_u32 v[11:12], null, v8, v2, 0
	v_mad_u64_u32 v[9:10], null, v7, v6, 0
	v_mad_u64_u32 v[13:14], null, v8, v6, 0
	v_add_co_u32 v2, vcc_lo, v15, v9
	v_add_co_ci_u32_e32 v6, vcc_lo, 0, v10, vcc_lo
	v_add_co_u32 v2, vcc_lo, v2, v11
	v_add_co_ci_u32_e32 v2, vcc_lo, v6, v12, vcc_lo
	v_add_co_ci_u32_e32 v6, vcc_lo, 0, v14, vcc_lo
	v_add_co_u32 v2, vcc_lo, v2, v13
	v_add_co_ci_u32_e32 v6, vcc_lo, 0, v6, vcc_lo
	v_mul_lo_u32 v11, s19, v2
	v_mad_u64_u32 v[9:10], null, s18, v2, 0
	v_mul_lo_u32 v12, s18, v6
	v_sub_co_u32 v9, vcc_lo, v7, v9
	v_add3_u32 v10, v10, v12, v11
	v_sub_nc_u32_e32 v11, v8, v10
	v_subrev_co_ci_u32_e64 v11, s0, s19, v11, vcc_lo
	v_add_co_u32 v12, s0, v2, 2
	v_add_co_ci_u32_e64 v13, s0, 0, v6, s0
	v_sub_co_u32 v14, s0, v9, s18
	v_sub_co_ci_u32_e32 v10, vcc_lo, v8, v10, vcc_lo
	v_subrev_co_ci_u32_e64 v11, s0, 0, v11, s0
	v_cmp_le_u32_e32 vcc_lo, s18, v14
	v_cmp_eq_u32_e64 s0, s19, v10
	v_cndmask_b32_e64 v14, 0, -1, vcc_lo
	v_cmp_le_u32_e32 vcc_lo, s19, v11
	v_cndmask_b32_e64 v15, 0, -1, vcc_lo
	v_cmp_le_u32_e32 vcc_lo, s18, v9
	;; [unrolled: 2-line block ×3, first 2 shown]
	v_cndmask_b32_e64 v16, 0, -1, vcc_lo
	v_cmp_eq_u32_e32 vcc_lo, s19, v11
	v_cndmask_b32_e64 v9, v16, v9, s0
	v_cndmask_b32_e32 v11, v15, v14, vcc_lo
	v_add_co_u32 v14, vcc_lo, v2, 1
	v_add_co_ci_u32_e32 v15, vcc_lo, 0, v6, vcc_lo
	v_cmp_ne_u32_e32 vcc_lo, 0, v11
	v_cndmask_b32_e32 v10, v15, v13, vcc_lo
	v_cndmask_b32_e32 v11, v14, v12, vcc_lo
	v_cmp_ne_u32_e32 vcc_lo, 0, v9
	v_cndmask_b32_e32 v10, v6, v10, vcc_lo
	v_cndmask_b32_e32 v9, v2, v11, vcc_lo
.LBB0_4:                                ;   in Loop: Header=BB0_2 Depth=1
	s_andn2_saveexec_b32 s0, s1
	s_cbranch_execz .LBB0_6
; %bb.5:                                ;   in Loop: Header=BB0_2 Depth=1
	v_cvt_f32_u32_e32 v2, s18
	s_sub_i32 s1, 0, s18
	v_rcp_iflag_f32_e32 v2, v2
	v_mul_f32_e32 v2, 0x4f7ffffe, v2
	v_cvt_u32_f32_e32 v2, v2
	v_mul_lo_u32 v6, s1, v2
	v_mul_hi_u32 v6, v2, v6
	v_add_nc_u32_e32 v2, v2, v6
	v_mul_hi_u32 v2, v7, v2
	v_mul_lo_u32 v6, v2, s18
	v_add_nc_u32_e32 v9, 1, v2
	v_sub_nc_u32_e32 v6, v7, v6
	v_subrev_nc_u32_e32 v10, s18, v6
	v_cmp_le_u32_e32 vcc_lo, s18, v6
	v_cndmask_b32_e32 v6, v6, v10, vcc_lo
	v_cndmask_b32_e32 v2, v2, v9, vcc_lo
	v_mov_b32_e32 v10, v5
	v_cmp_le_u32_e32 vcc_lo, s18, v6
	v_add_nc_u32_e32 v9, 1, v2
	v_cndmask_b32_e32 v9, v2, v9, vcc_lo
.LBB0_6:                                ;   in Loop: Header=BB0_2 Depth=1
	s_or_b32 exec_lo, exec_lo, s0
	s_load_dwordx2 s[0:1], s[6:7], 0x0
	v_mul_lo_u32 v2, v10, s18
	v_mul_lo_u32 v6, v9, s19
	v_mad_u64_u32 v[11:12], null, v9, s18, 0
	s_add_u32 s16, s16, 1
	s_addc_u32 s17, s17, 0
	s_add_u32 s6, s6, 8
	s_addc_u32 s7, s7, 0
	;; [unrolled: 2-line block ×3, first 2 shown]
	v_add3_u32 v2, v12, v6, v2
	v_sub_co_u32 v6, vcc_lo, v7, v11
	v_sub_co_ci_u32_e32 v2, vcc_lo, v8, v2, vcc_lo
	s_waitcnt lgkmcnt(0)
	v_mul_lo_u32 v7, s1, v6
	v_mul_lo_u32 v2, s0, v2
	v_mad_u64_u32 v[3:4], null, s0, v6, v[3:4]
	v_cmp_ge_u64_e64 s0, s[16:17], s[10:11]
	s_and_b32 vcc_lo, exec_lo, s0
	v_add3_u32 v4, v7, v4, v2
	s_cbranch_vccnz .LBB0_8
; %bb.7:                                ;   in Loop: Header=BB0_2 Depth=1
	v_mov_b32_e32 v7, v9
	v_mov_b32_e32 v8, v10
	s_branch .LBB0_2
.LBB0_8:
	s_lshl_b64 s[0:1], s[10:11], 3
	v_mul_hi_u32 v2, 0xaaaaaaab, v1
	s_add_u32 s0, s12, s0
	s_addc_u32 s1, s13, s1
	s_load_dwordx2 s[4:5], s[4:5], 0x20
	s_load_dwordx2 s[0:1], s[0:1], 0x0
	v_mul_hi_u32 v5, 0x33333334, v0
	v_lshrrev_b32_e32 v2, 3, v2
	v_mul_u32_u24_e32 v5, 5, v5
	v_mul_lo_u32 v2, v2, 12
	v_sub_nc_u32_e32 v44, v0, v5
	v_sub_nc_u32_e32 v1, v1, v2
	s_waitcnt lgkmcnt(0)
	v_cmp_gt_u64_e32 vcc_lo, s[4:5], v[9:10]
	v_mul_lo_u32 v6, s0, v10
	v_mul_lo_u32 v7, s1, v9
	v_mad_u64_u32 v[3:4], null, s0, v9, v[3:4]
	v_mul_u32_u24_e32 v2, 0x97, v1
	v_lshlrev_b32_e32 v52, 3, v2
	v_add3_u32 v4, v7, v4, v6
	v_lshlrev_b64 v[46:47], 3, v[3:4]
	s_and_saveexec_b32 s1, vcc_lo
	s_cbranch_execz .LBB0_12
; %bb.9:
	v_mov_b32_e32 v45, 0
	v_add_co_u32 v0, s0, s2, v46
	v_add_co_ci_u32_e64 v1, s0, s3, v47, s0
	v_lshlrev_b64 v[3:4], 3, v[44:45]
	s_mov_b32 s4, exec_lo
	v_add_co_u32 v3, s0, v0, v3
	v_add_co_ci_u32_e64 v4, s0, v1, v4, s0
	s_clause 0x1d
	global_load_dwordx2 v[5:6], v[3:4], off
	global_load_dwordx2 v[7:8], v[3:4], off offset:40
	global_load_dwordx2 v[9:10], v[3:4], off offset:80
	;; [unrolled: 1-line block ×29, first 2 shown]
	v_lshlrev_b32_e32 v3, 3, v44
	v_add3_u32 v3, 0, v52, v3
	s_waitcnt vmcnt(28)
	ds_write2_b64 v3, v[5:6], v[7:8] offset1:5
	s_waitcnt vmcnt(26)
	ds_write2_b64 v3, v[9:10], v[11:12] offset0:10 offset1:15
	s_waitcnt vmcnt(24)
	ds_write2_b64 v3, v[13:14], v[15:16] offset0:20 offset1:25
	;; [unrolled: 2-line block ×14, first 2 shown]
	v_cmpx_eq_u32_e32 4, v44
	s_cbranch_execz .LBB0_11
; %bb.10:
	global_load_dwordx2 v[0:1], v[0:1], off offset:1200
	v_mov_b32_e32 v44, 4
	s_waitcnt vmcnt(0)
	ds_write_b64 v3, v[0:1] offset:1168
.LBB0_11:
	s_or_b32 exec_lo, exec_lo, s4
.LBB0_12:
	s_or_b32 exec_lo, exec_lo, s1
	v_lshl_add_u32 v50, v2, 3, 0
	v_lshlrev_b32_e32 v7, 3, v44
	s_waitcnt lgkmcnt(0)
	s_barrier
	buffer_gl0_inv
	s_mov_b32 s1, exec_lo
	v_add_nc_u32_e32 v51, v50, v7
	v_sub_nc_u32_e32 v6, v50, v7
                                        ; implicit-def: $vgpr2_vgpr3
	ds_read_b32 v4, v51
	ds_read_b32 v5, v6 offset:1200
	s_waitcnt lgkmcnt(0)
	v_add_f32_e32 v0, v5, v4
	v_sub_f32_e32 v1, v4, v5
	v_cmpx_ne_u32_e32 0, v44
	s_xor_b32 s1, exec_lo, s1
	s_cbranch_execz .LBB0_14
; %bb.13:
	v_mov_b32_e32 v45, 0
	v_add_f32_e32 v8, v5, v4
	v_sub_f32_e32 v9, v4, v5
	v_lshlrev_b64 v[0:1], 3, v[44:45]
	v_add_co_u32 v0, s0, s8, v0
	v_add_co_ci_u32_e64 v1, s0, s9, v1, s0
	global_load_dwordx2 v[2:3], v[0:1], off offset:1120
	ds_read_b32 v0, v6 offset:1204
	ds_read_b32 v1, v51 offset:4
	s_waitcnt lgkmcnt(0)
	v_add_f32_e32 v10, v0, v1
	v_sub_f32_e32 v0, v1, v0
	s_waitcnt vmcnt(0)
	v_fma_f32 v4, -v9, v3, v8
	v_fma_f32 v5, v10, v3, -v0
	v_fma_f32 v11, v9, v3, v8
	v_fma_f32 v1, v10, v3, v0
	v_fmac_f32_e32 v4, v2, v10
	v_fmac_f32_e32 v5, v9, v2
	v_fma_f32 v0, -v2, v10, v11
	v_fmac_f32_e32 v1, v9, v2
	v_mov_b32_e32 v2, v44
	v_mov_b32_e32 v3, v45
	ds_write_b64 v6, v[4:5] offset:1200
.LBB0_14:
	s_andn2_saveexec_b32 s0, s1
	s_cbranch_execz .LBB0_16
; %bb.15:
	ds_read_b64 v[2:3], v50 offset:600
	s_waitcnt lgkmcnt(0)
	v_add_f32_e32 v4, v2, v2
	v_mul_f32_e32 v5, -2.0, v3
	v_mov_b32_e32 v2, 0
	v_mov_b32_e32 v3, 0
	ds_write_b64 v50, v[4:5] offset:600
.LBB0_16:
	s_or_b32 exec_lo, exec_lo, s0
	v_lshlrev_b64 v[2:3], 3, v[2:3]
	s_add_u32 s0, s8, 0x460
	s_addc_u32 s1, s9, 0
	v_add_nc_u32_e32 v55, 20, v44
	v_add_nc_u32_e32 v54, 25, v44
	v_add3_u32 v45, 0, v7, v52
	v_add_co_u32 v2, s0, s0, v2
	v_add_co_ci_u32_e64 v3, s0, s1, v3, s0
	v_lshlrev_b32_e32 v48, 2, v44
	v_mov_b32_e32 v49, 0
	v_add_nc_u32_e32 v53, 5, v44
	s_clause 0x6
	global_load_dwordx2 v[4:5], v[2:3], off offset:40
	global_load_dwordx2 v[8:9], v[2:3], off offset:80
	;; [unrolled: 1-line block ×7, first 2 shown]
	ds_write_b64 v51, v[0:1]
	ds_read_b64 v[0:1], v51 offset:40
	ds_read_b64 v[20:21], v6 offset:1160
	global_load_dwordx2 v[22:23], v[2:3], off offset:320
	v_mul_u32_u24_e32 v7, 10, v44
	v_lshlrev_b32_e32 v7, 3, v7
	s_waitcnt lgkmcnt(0)
	v_add_f32_e32 v24, v0, v20
	v_add_f32_e32 v25, v21, v1
	v_sub_f32_e32 v26, v0, v20
	v_sub_f32_e32 v0, v1, v21
	s_waitcnt vmcnt(7)
	v_fma_f32 v27, v26, v5, v24
	v_fma_f32 v1, v25, v5, v0
	v_fma_f32 v20, -v26, v5, v24
	v_fma_f32 v21, v25, v5, -v0
	v_fma_f32 v0, -v4, v25, v27
	v_fmac_f32_e32 v1, v26, v4
	v_fmac_f32_e32 v20, v4, v25
	v_fmac_f32_e32 v21, v26, v4
	ds_write_b64 v51, v[0:1] offset:40
	ds_write_b64 v6, v[20:21] offset:1160
	ds_read_b64 v[0:1], v51 offset:80
	ds_read_b64 v[4:5], v6 offset:1120
	global_load_dwordx2 v[20:21], v[2:3], off offset:360
	s_waitcnt lgkmcnt(0)
	v_add_f32_e32 v24, v0, v4
	v_add_f32_e32 v25, v5, v1
	v_sub_f32_e32 v26, v0, v4
	v_sub_f32_e32 v0, v1, v5
	s_waitcnt vmcnt(7)
	v_fma_f32 v27, v26, v9, v24
	v_fma_f32 v1, v25, v9, v0
	v_fma_f32 v4, -v26, v9, v24
	v_fma_f32 v5, v25, v9, -v0
	v_fma_f32 v0, -v8, v25, v27
	v_fmac_f32_e32 v1, v26, v8
	v_fmac_f32_e32 v4, v8, v25
	v_fmac_f32_e32 v5, v26, v8
	ds_write_b64 v51, v[0:1] offset:80
	ds_write_b64 v6, v[4:5] offset:1120
	ds_read_b64 v[0:1], v51 offset:120
	ds_read_b64 v[4:5], v6 offset:1080
	global_load_dwordx2 v[8:9], v[2:3], off offset:400
	;; [unrolled: 19-line block ×6, first 2 shown]
	s_waitcnt lgkmcnt(0)
	v_add_f32_e32 v2, v4, v16
	v_add_f32_e32 v24, v17, v5
	v_sub_f32_e32 v16, v4, v16
	v_sub_f32_e32 v5, v5, v17
	s_waitcnt vmcnt(7)
	v_fma_f32 v17, v16, v19, v2
	v_fma_f32 v3, v24, v19, v5
	v_fma_f32 v4, -v16, v19, v2
	v_fma_f32 v5, v24, v19, -v5
	v_fma_f32 v2, -v18, v24, v17
	v_fmac_f32_e32 v3, v16, v18
	v_fmac_f32_e32 v4, v18, v24
	v_fmac_f32_e32 v5, v16, v18
	ds_write_b64 v51, v[2:3] offset:280
	ds_write_b64 v6, v[4:5] offset:920
	ds_read_b64 v[2:3], v51 offset:320
	ds_read_b64 v[4:5], v6 offset:880
	s_waitcnt lgkmcnt(0)
	v_add_f32_e32 v16, v2, v4
	v_add_f32_e32 v17, v5, v3
	v_sub_f32_e32 v18, v2, v4
	v_sub_f32_e32 v2, v3, v5
	s_waitcnt vmcnt(6)
	v_fma_f32 v19, v18, v23, v16
	v_fma_f32 v3, v17, v23, v2
	v_fma_f32 v4, -v18, v23, v16
	v_fma_f32 v5, v17, v23, -v2
	v_fma_f32 v2, -v22, v17, v19
	v_fmac_f32_e32 v3, v18, v22
	v_fmac_f32_e32 v4, v22, v17
	v_fmac_f32_e32 v5, v18, v22
	ds_write_b64 v51, v[2:3] offset:320
	ds_write_b64 v6, v[4:5] offset:880
	ds_read_b64 v[2:3], v51 offset:360
	ds_read_b64 v[4:5], v6 offset:840
	;; [unrolled: 18-line block ×6, first 2 shown]
	v_lshlrev_b64 v[12:13], 3, v[48:49]
	v_lshlrev_b32_e32 v48, 2, v53
	v_lshlrev_b64 v[16:17], 3, v[48:49]
	v_add_co_u32 v16, s0, s8, v16
	v_add_co_ci_u32_e64 v17, s0, s9, v17, s0
	v_add_co_u32 v12, s0, s8, v12
	v_add_co_ci_u32_e64 v13, s0, s9, v13, s0
	s_waitcnt lgkmcnt(0)
	v_add_f32_e32 v8, v2, v4
	v_add_f32_e32 v9, v5, v3
	v_sub_f32_e32 v10, v2, v4
	v_sub_f32_e32 v2, v3, v5
	s_waitcnt vmcnt(1)
	v_fma_f32 v11, v10, v15, v8
	v_fma_f32 v3, v9, v15, v2
	v_fma_f32 v4, -v10, v15, v8
	v_fma_f32 v5, v9, v15, -v2
	v_and_b32_e32 v8, 0xff, v55
	v_fma_f32 v2, -v14, v9, v11
	v_fmac_f32_e32 v3, v10, v14
	v_fmac_f32_e32 v4, v14, v9
	;; [unrolled: 1-line block ×3, first 2 shown]
	ds_write_b64 v51, v[2:3] offset:520
	ds_write_b64 v6, v[4:5] offset:680
	ds_read_b64 v[2:3], v51 offset:560
	ds_read_b64 v[4:5], v6 offset:640
	v_and_b32_e32 v9, 0xff, v54
	v_mul_lo_u16 v8, 0xcd, v8
	v_mov_b32_e32 v14, 5
	v_lshrrev_b16 v8, 11, v8
	v_mul_lo_u16 v8, v8, 10
	v_sub_nc_u16 v48, v55, v8
	s_waitcnt lgkmcnt(0)
	v_add_f32_e32 v10, v2, v4
	v_add_f32_e32 v11, v5, v3
	v_sub_f32_e32 v15, v2, v4
	v_sub_f32_e32 v4, v3, v5
	v_mul_lo_u16 v5, 0xcd, v9
	v_lshlrev_b32_sdwa v20, v14, v48 dst_sel:DWORD dst_unused:UNUSED_PAD src0_sel:DWORD src1_sel:BYTE_0
	s_waitcnt vmcnt(0)
	v_fma_f32 v9, v15, v1, v10
	v_fma_f32 v2, v11, v1, v4
	v_fma_f32 v3, -v15, v1, v10
	v_fma_f32 v4, v11, v1, -v4
	v_lshrrev_b16 v18, 11, v5
	v_fma_f32 v1, -v0, v11, v9
	v_fmac_f32_e32 v2, v15, v0
	v_fmac_f32_e32 v3, v0, v11
	;; [unrolled: 1-line block ×3, first 2 shown]
	v_add3_u32 v15, 0, v7, v52
	ds_write_b64 v51, v[1:2] offset:560
	ds_write_b64 v6, v[3:4] offset:640
	s_waitcnt lgkmcnt(0)
	s_barrier
	buffer_gl0_inv
	s_barrier
	buffer_gl0_inv
	ds_read2_b64 v[0:3], v45 offset0:15 offset1:20
	ds_read2_b64 v[4:7], v45 offset0:45 offset1:50
	ds_read2_b64 v[8:11], v45 offset0:75 offset1:80
	ds_read2_b64 v[21:24], v45 offset0:105 offset1:110
	ds_read2_b64 v[25:28], v45 offset0:135 offset1:140
	v_mul_lo_u16 v43, v18, 10
	ds_read2_b64 v[29:32], v45 offset0:5 offset1:10
	ds_read2_b64 v[33:36], v45 offset0:35 offset1:40
	;; [unrolled: 1-line block ×9, first 2 shown]
	ds_read_b64 v[18:19], v51
	ds_read_b64 v[41:42], v45 offset:1160
	s_waitcnt lgkmcnt(0)
	s_barrier
	buffer_gl0_inv
	v_add_f32_e32 v106, v30, v34
	v_add_f32_e32 v108, v32, v36
	;; [unrolled: 1-line block ×3, first 2 shown]
	v_sub_f32_e32 v110, v38, v57
	v_add_f32_e32 v88, v1, v5
	v_add_f32_e32 v98, v3, v7
	v_sub_f32_e32 v83, v9, v22
	v_sub_f32_e32 v82, v5, v26
	v_add_f32_e32 v129, v18, v66
	v_sub_f32_e32 v87, v8, v4
	v_add_f32_e32 v89, v9, v22
	;; [unrolled: 2-line block ×3, first 2 shown]
	v_sub_f32_e32 v5, v9, v5
	v_sub_f32_e32 v95, v11, v24
	v_add_f32_e32 v99, v11, v24
	v_sub_f32_e32 v101, v7, v11
	v_sub_f32_e32 v102, v11, v7
	v_add_f32_e32 v134, v70, v74
	v_sub_f32_e32 v137, v70, v74
	v_add_f32_e32 v9, v88, v9
	v_add_f32_e32 v11, v98, v11
	v_sub_f32_e32 v88, v66, v70
	v_sub_f32_e32 v98, v70, v66
	v_add_f32_e32 v70, v129, v70
	v_sub_f32_e32 v129, v21, v25
	v_add_f32_e32 v80, v0, v4
	v_sub_f32_e32 v103, v7, v28
	v_add_f32_e32 v7, v7, v28
	v_add_f32_e32 v93, v2, v6
	v_add_f32_e32 v87, v87, v129
	v_sub_f32_e32 v129, v24, v28
	v_add_f32_e32 v81, v8, v21
	v_sub_f32_e32 v84, v4, v8
	v_sub_f32_e32 v90, v8, v21
	v_add_f32_e32 v113, v38, v57
	v_sub_f32_e32 v115, v34, v38
	v_sub_f32_e32 v116, v38, v34
	v_add_f32_e32 v130, v19, v67
	v_add_f32_e32 v132, v65, v69
	v_sub_f32_e32 v133, v78, v74
	v_sub_f32_e32 v140, v69, v73
	v_add_f32_e32 v8, v80, v8
	v_sub_f32_e32 v80, v73, v69
	v_add_f32_e32 v38, v106, v38
	;; [unrolled: 2-line block ×3, first 2 shown]
	v_fma_f32 v99, -0.5, v99, v3
	v_fmac_f32_e32 v3, -0.5, v7
	v_add_f32_e32 v7, v73, v77
	v_add_f32_e32 v102, v102, v129
	v_sub_f32_e32 v129, v77, v42
	v_add_f32_e32 v94, v10, v23
	v_sub_f32_e32 v96, v6, v10
	v_sub_f32_e32 v97, v10, v6
	;; [unrolled: 1-line block ×6, first 2 shown]
	v_add_f32_e32 v127, v40, v59
	v_add_f32_e32 v10, v93, v10
	v_sub_f32_e32 v93, v67, v71
	v_add_f32_e32 v40, v108, v40
	v_sub_f32_e32 v108, v79, v75
	;; [unrolled: 2-line block ×3, first 2 shown]
	v_sub_f32_e32 v112, v37, v33
	v_sub_f32_e32 v114, v37, v56
	v_add_f32_e32 v135, v71, v75
	v_sub_f32_e32 v136, v71, v75
	v_add_f32_e32 v37, v105, v37
	;; [unrolled: 2-line block ×4, first 2 shown]
	v_sub_f32_e32 v133, v22, v26
	v_fma_f32 v141, -0.5, v7, v65
	v_fmac_f32_e32 v65, -0.5, v69
	v_sub_f32_e32 v7, v61, v57
	v_add_f32_e32 v69, v80, v129
	v_sub_f32_e32 v80, v57, v61
	v_sub_f32_e32 v85, v25, v21
	v_add_f32_e32 v93, v93, v108
	v_sub_f32_e32 v108, v74, v78
	v_sub_f32_e32 v124, v36, v63
	v_add_f32_e32 v36, v36, v63
	v_add_f32_e32 v91, v91, v130
	v_sub_f32_e32 v130, v75, v79
	v_add_f32_e32 v133, v5, v133
	v_sub_f32_e32 v5, v60, v56
	;; [unrolled: 2-line block ×4, first 2 shown]
	v_add_f32_e32 v107, v31, v35
	v_add_f32_e32 v84, v84, v85
	;; [unrolled: 1-line block ×4, first 2 shown]
	v_sub_f32_e32 v108, v27, v23
	v_add_f32_e32 v86, v4, v25
	v_add_f32_e32 v104, v6, v27
	v_sub_f32_e32 v118, v35, v39
	v_sub_f32_e32 v119, v39, v35
	v_add_f32_e32 v123, v33, v60
	v_add_f32_e32 v131, v64, v68
	v_sub_f32_e32 v138, v68, v72
	v_add_f32_e32 v105, v105, v130
	v_sub_f32_e32 v130, v28, v24
	;; [unrolled: 2-line block ×3, first 2 shown]
	v_sub_f32_e32 v129, v58, v62
	v_add_f32_e32 v120, v120, v7
	v_sub_f32_e32 v7, v41, v76
	v_fma_f32 v127, -0.5, v127, v32
	v_fmac_f32_e32 v32, -0.5, v36
	v_add_f32_e32 v36, v66, v78
	v_add_f32_e32 v116, v121, v116
	v_sub_f32_e32 v121, v42, v77
	v_add_f32_e32 v117, v39, v58
	v_sub_f32_e32 v122, v34, v61
	;; [unrolled: 2-line block ×3, first 2 shown]
	v_add_f32_e32 v39, v107, v39
	v_add_f32_e32 v107, v68, v41
	v_fma_f32 v135, -0.5, v135, v19
	v_fmac_f32_e32 v19, -0.5, v85
	v_sub_f32_e32 v85, v23, v27
	v_add_f32_e32 v96, v96, v108
	v_add_f32_e32 v108, v72, v76
	v_fma_f32 v81, -0.5, v81, v0
	v_sub_f32_e32 v139, v72, v68
	v_add_f32_e32 v101, v101, v130
	v_sub_f32_e32 v130, v73, v77
	v_add_f32_e32 v118, v118, v5
	;; [unrolled: 2-line block ×3, first 2 shown]
	v_add_f32_e32 v129, v138, v7
	v_sub_f32_e32 v7, v66, v78
	v_add_f32_e32 v66, v131, v72
	v_add_f32_e32 v72, v132, v73
	;; [unrolled: 1-line block ×3, first 2 shown]
	v_fma_f32 v36, -0.5, v36, v18
	v_fma_f32 v121, -0.5, v134, v18
	;; [unrolled: 1-line block ×8, first 2 shown]
	v_add_f32_e32 v0, v8, v21
	v_add_f32_e32 v8, v10, v23
	v_sub_f32_e32 v4, v4, v25
	v_fma_f32 v89, -0.5, v89, v1
	v_sub_f32_e32 v6, v6, v27
	v_sub_f32_e32 v68, v68, v41
	v_add_f32_e32 v85, v97, v85
	v_sub_f32_e32 v97, v76, v41
	v_fma_f32 v113, -0.5, v113, v30
	v_fma_f32 v123, -0.5, v34, v30
	;; [unrolled: 1-line block ×4, first 2 shown]
	v_add_f32_e32 v1, v9, v22
	v_add_f32_e32 v9, v11, v24
	;; [unrolled: 1-line block ×6, first 2 shown]
	v_fmamk_f32 v59, v82, 0x3f737871, v81
	v_fmamk_f32 v58, v83, 0xbf737871, v18
	v_fmac_f32_e32 v18, 0x3f737871, v83
	v_fmamk_f32 v64, v90, 0x3f737871, v86
	v_fmac_f32_e32 v86, 0xbf737871, v90
	v_add_f32_e32 v8, v8, v27
	v_fmamk_f32 v27, v95, 0xbf737871, v2
	v_fmac_f32_e32 v2, 0x3f737871, v95
	v_add_f32_e32 v37, v66, v76
	v_fmac_f32_e32 v81, 0xbf737871, v82
	v_fmamk_f32 v66, v4, 0xbf737871, v89
	v_fmac_f32_e32 v89, 0x3f737871, v4
	v_fmamk_f32 v76, v100, 0x3f737871, v3
	v_sub_f32_e32 v33, v33, v60
	v_add_f32_e32 v125, v35, v62
	v_sub_f32_e32 v35, v35, v62
	v_add_f32_e32 v97, v139, v97
	v_sub_f32_e32 v139, v56, v60
	v_sub_f32_e32 v67, v67, v79
	v_add_f32_e32 v24, v71, v75
	v_fmamk_f32 v75, v103, 0x3f737871, v29
	v_fmac_f32_e32 v29, 0xbf737871, v103
	v_add_f32_e32 v9, v9, v28
	v_fmamk_f32 v28, v6, 0xbf737871, v99
	v_fmac_f32_e32 v99, 0x3f737871, v6
	v_fmac_f32_e32 v3, 0xbf737871, v100
	v_add_f32_e32 v10, v10, v60
	v_add_f32_e32 v11, v11, v61
	;; [unrolled: 1-line block ×4, first 2 shown]
	v_fmamk_f32 v60, v106, 0x3f737871, v30
	v_fmac_f32_e32 v30, 0xbf737871, v106
	v_fmamk_f32 v61, v130, 0xbf737871, v34
	v_fmac_f32_e32 v34, 0x3f737871, v130
	v_fmamk_f32 v62, v68, 0xbf737871, v141
	v_fmac_f32_e32 v141, 0x3f737871, v68
	v_fmamk_f32 v63, v5, 0x3f737871, v65
	v_fmac_f32_e32 v65, 0xbf737871, v5
	v_fmac_f32_e32 v59, 0x3f167918, v83
	v_add_f32_e32 v23, v70, v74
	v_add_f32_e32 v38, v72, v77
	v_fmac_f32_e32 v58, 0x3f167918, v82
	v_fmac_f32_e32 v18, 0xbf167918, v82
	;; [unrolled: 1-line block ×8, first 2 shown]
	v_fma_f32 v94, -0.5, v117, v31
	v_fma_f32 v31, -0.5, v125, v31
	v_fmamk_f32 v40, v67, 0x3f737871, v121
	v_fmamk_f32 v57, v7, 0xbf737871, v135
	;; [unrolled: 1-line block ×3, first 2 shown]
	v_fmac_f32_e32 v123, 0xbf737871, v114
	v_fmamk_f32 v108, v128, 0x3f737871, v32
	v_fmac_f32_e32 v32, 0xbf737871, v128
	v_fmac_f32_e32 v66, 0xbf167918, v90
	;; [unrolled: 1-line block ×15, first 2 shown]
	v_fmamk_f32 v39, v136, 0xbf737871, v36
	v_fmac_f32_e32 v36, 0x3f737871, v136
	v_fmamk_f32 v56, v137, 0x3f737871, v19
	v_fmac_f32_e32 v19, 0xbf737871, v137
	v_add_f32_e32 v25, v0, v25
	v_add_f32_e32 v26, v1, v26
	v_add_f32_e32 v23, v23, v78
	v_add_f32_e32 v24, v24, v79
	v_add_f32_e32 v37, v37, v41
	v_add_f32_e32 v38, v38, v42
	v_fmac_f32_e32 v58, 0x3e9e377a, v87
	v_fmac_f32_e32 v18, 0x3e9e377a, v87
	;; [unrolled: 1-line block ×9, first 2 shown]
	v_fmamk_f32 v71, v110, 0xbf737871, v109
	v_fmac_f32_e32 v76, 0x3e9e377a, v102
	v_fmamk_f32 v70, v122, 0x3f737871, v92
	v_fmac_f32_e32 v92, 0xbf737871, v122
	v_fmac_f32_e32 v109, 0x3f737871, v110
	v_fmamk_f32 v72, v33, 0xbf737871, v113
	v_fmac_f32_e32 v113, 0x3f737871, v33
	v_fmamk_f32 v77, v124, 0x3f737871, v94
	;; [unrolled: 2-line block ×4, first 2 shown]
	v_fmac_f32_e32 v127, 0x3f737871, v35
	v_fmac_f32_e32 v40, 0x3f167918, v136
	;; [unrolled: 1-line block ×22, first 2 shown]
	v_mul_f32_e32 v33, 0x3f4f1bbd, v59
	v_mul_f32_e32 v35, 0xbf167918, v59
	v_fmac_f32_e32 v39, 0x3f167918, v67
	v_fmac_f32_e32 v36, 0xbf167918, v67
	;; [unrolled: 1-line block ×4, first 2 shown]
	v_add_f32_e32 v0, v23, v25
	v_add_f32_e32 v1, v24, v26
	v_sub_f32_e32 v4, v23, v25
	v_sub_f32_e32 v5, v24, v26
	v_add_f32_e32 v6, v10, v8
	v_add_f32_e32 v7, v11, v9
	v_sub_f32_e32 v8, v10, v8
	v_sub_f32_e32 v9, v11, v9
	;; [unrolled: 4-line block ×3, first 2 shown]
	v_mul_f32_e32 v37, 0x3f737871, v64
	v_mul_f32_e32 v38, 0xbf737871, v58
	;; [unrolled: 1-line block ×5, first 2 shown]
	v_fmac_f32_e32 v121, 0xbf167918, v136
	v_fmac_f32_e32 v135, 0x3f167918, v137
	v_mul_f32_e32 v25, 0x3f4f1bbd, v81
	v_mul_f32_e32 v26, 0x3f4f1bbd, v89
	v_add_f32_e32 v112, v112, v139
	v_fmac_f32_e32 v71, 0x3f167918, v122
	v_mul_f32_e32 v68, 0x3f737871, v76
	v_fmac_f32_e32 v70, 0x3f167918, v110
	v_fmac_f32_e32 v92, 0xbf167918, v110
	;; [unrolled: 1-line block ×17, first 2 shown]
	v_mul_f32_e32 v42, 0x3e9e377a, v3
	v_mul_f32_e32 v59, 0x3e9e377a, v34
	;; [unrolled: 1-line block ×14, first 2 shown]
	v_fmac_f32_e32 v33, 0x3f167918, v66
	v_fmac_f32_e32 v35, 0x3f4f1bbd, v66
	;; [unrolled: 1-line block ×6, first 2 shown]
	v_fma_f32 v87, 0x3f737871, v3, -v41
	v_fmac_f32_e32 v37, 0x3e9e377a, v58
	v_fmac_f32_e32 v38, 0x3e9e377a, v64
	v_fma_f32 v41, 0x3f737871, v86, -v23
	v_fma_f32 v18, 0xbf737871, v18, -v24
	v_fmac_f32_e32 v121, 0x3e9e377a, v88
	v_fmac_f32_e32 v135, 0x3e9e377a, v93
	v_fma_f32 v58, 0x3f167918, v89, -v25
	v_fma_f32 v64, 0xbf167918, v81, -v26
	v_fmac_f32_e32 v71, 0x3e9e377a, v112
	v_fmac_f32_e32 v68, 0x3e9e377a, v27
	;; [unrolled: 1-line block ×15, first 2 shown]
	v_fma_f32 v81, 0x3f737871, v65, -v59
	v_fma_f32 v59, 0xbf737871, v34, -v67
	v_fmac_f32_e32 v69, 0x3f167918, v28
	v_fmac_f32_e32 v73, 0x3f4f1bbd, v28
	v_fma_f32 v66, 0x3f167918, v99, -v75
	v_fmac_f32_e32 v78, 0x3e9e377a, v76
	v_fma_f32 v65, 0xbf737871, v2, -v42
	v_fma_f32 v67, 0xbf167918, v29, -v79
	v_fmac_f32_e32 v80, 0x3f167918, v62
	v_fmac_f32_e32 v82, 0x3f4f1bbd, v62
	;; [unrolled: 1-line block ×3, first 2 shown]
	v_fma_f32 v79, 0x3f167918, v141, -v60
	v_fmac_f32_e32 v84, 0x3e9e377a, v63
	v_fma_f32 v85, 0xbf167918, v30, -v85
	v_add_f32_e32 v2, v40, v33
	v_add_f32_e32 v3, v57, v35
	;; [unrolled: 1-line block ×8, first 2 shown]
	v_sub_f32_e32 v29, v40, v33
	v_sub_f32_e32 v30, v57, v35
	;; [unrolled: 1-line block ×8, first 2 shown]
	v_add_f32_e32 v56, v71, v68
	v_add_f32_e32 v38, v32, v59
	v_sub_f32_e32 v32, v32, v59
	v_add_f32_e32 v39, v70, v69
	v_add_f32_e32 v40, v72, v73
	v_sub_f32_e32 v41, v70, v69
	v_sub_f32_e32 v42, v72, v73
	v_add_f32_e32 v57, v74, v78
	v_sub_f32_e32 v58, v71, v68
	v_sub_f32_e32 v59, v74, v78
	v_add_f32_e32 v60, v109, v87
	v_add_f32_e32 v61, v123, v65
	v_sub_f32_e32 v62, v109, v87
	v_sub_f32_e32 v63, v123, v65
	v_add_f32_e32 v64, v92, v66
	;; [unrolled: 4-line block ×3, first 2 shown]
	v_sub_f32_e32 v31, v31, v81
	v_add_f32_e32 v68, v77, v80
	v_add_f32_e32 v69, v107, v82
	v_sub_f32_e32 v70, v77, v80
	v_sub_f32_e32 v71, v107, v82
	v_add_f32_e32 v72, v104, v83
	v_add_f32_e32 v73, v108, v84
	v_sub_f32_e32 v74, v104, v83
	;; [unrolled: 4-line block ×3, first 2 shown]
	v_sub_f32_e32 v79, v127, v85
	ds_write2_b64 v15, v[0:1], v[2:3] offset1:1
	ds_write2_b64 v15, v[23:24], v[25:26] offset0:2 offset1:3
	ds_write2_b64 v15, v[27:28], v[4:5] offset0:4 offset1:5
	;; [unrolled: 1-line block ×14, first 2 shown]
	v_sub_nc_u16 v56, v54, v43
	s_waitcnt lgkmcnt(0)
	s_barrier
	buffer_gl0_inv
	s_clause 0x1
	global_load_dwordx4 v[4:7], v[16:17], off offset:16
	global_load_dwordx4 v[8:11], v20, s[8:9] offset:16
	v_lshlrev_b32_sdwa v18, v14, v56 dst_sel:DWORD dst_unused:UNUSED_PAD src0_sel:DWORD src1_sel:BYTE_0
	s_clause 0x5
	global_load_dwordx4 v[0:3], v[12:13], off offset:16
	global_load_dwordx4 v[28:31], v18, s[8:9] offset:16
	global_load_dwordx4 v[12:15], v[12:13], off
	global_load_dwordx4 v[24:27], v18, s[8:9]
	global_load_dwordx4 v[16:19], v[16:17], off
	global_load_dwordx4 v[20:23], v20, s[8:9]
	ds_read2_b64 v[32:35], v45 offset0:105 offset1:110
	ds_read2_b64 v[57:60], v45 offset0:135 offset1:140
	;; [unrolled: 1-line block ×12, first 2 shown]
	ds_read_b64 v[101:102], v45 offset:1160
	ds_read_b64 v[103:104], v51
	ds_read2_b64 v[97:100], v45 offset0:5 offset1:10
	ds_read2_b64 v[40:43], v45 offset0:15 offset1:20
	v_mov_b32_e32 v105, 3
	s_waitcnt vmcnt(0) lgkmcnt(0)
	s_barrier
	buffer_gl0_inv
	v_mul_f32_e32 v106, v33, v5
	v_mul_f32_e32 v108, v35, v9
	;; [unrolled: 1-line block ×19, first 2 shown]
	v_fma_f32 v32, v32, v4, -v106
	v_fmac_f32_e32 v109, v35, v8
	v_mul_f32_e32 v35, v90, v17
	v_fma_f32 v106, v59, v10, -v9
	v_mul_f32_e32 v9, v89, v17
	v_fmac_f32_e32 v111, v58, v6
	v_mul_f32_e32 v58, v39, v13
	v_mul_f32_e32 v116, v76, v3
	;; [unrolled: 1-line block ×14, first 2 shown]
	v_fmac_f32_e32 v107, v33, v4
	v_fma_f32 v33, v34, v8, -v108
	v_mul_f32_e32 v8, v87, v23
	v_mul_f32_e32 v23, v86, v19
	;; [unrolled: 1-line block ×3, first 2 shown]
	v_fmac_f32_e32 v110, v60, v10
	v_mul_f32_e32 v10, v94, v19
	v_mul_f32_e32 v17, v93, v19
	v_mul_f32_e32 v19, v92, v13
	v_fma_f32 v108, v57, v6, -v11
	v_mul_f32_e32 v11, v91, v13
	v_mul_f32_e32 v57, v96, v15
	;; [unrolled: 1-line block ×3, first 2 shown]
	v_fma_f32 v59, v69, v4, -v112
	v_fmac_f32_e32 v113, v70, v4
	v_fma_f32 v60, v73, v6, -v5
	v_fmac_f32_e32 v114, v74, v6
	v_mul_f32_e32 v4, v38, v13
	v_fma_f32 v65, v65, v26, -v1
	v_fma_f32 v1, v81, v16, -v126
	v_fmac_f32_e32 v127, v82, v16
	v_fma_f32 v6, v89, v16, -v35
	v_fmac_f32_e32 v9, v90, v16
	v_fma_f32 v16, v38, v12, -v58
	v_mul_f32_e32 v117, v75, v3
	v_mul_f32_e32 v3, v62, v25
	;; [unrolled: 1-line block ×3, first 2 shown]
	v_fma_f32 v69, v71, v0, -v7
	v_fmac_f32_e32 v115, v72, v0
	v_fma_f32 v70, v75, v2, -v116
	v_fma_f32 v71, v101, v30, -v118
	v_fmac_f32_e32 v119, v102, v30
	v_fma_f32 v30, v77, v28, -v120
	v_fmac_f32_e32 v29, v78, v28
	;; [unrolled: 2-line block ×5, first 2 shown]
	v_fmac_f32_e32 v21, v84, v20
	v_fma_f32 v7, v93, v18, -v10
	v_fmac_f32_e32 v17, v94, v18
	v_fma_f32 v10, v91, v12, -v19
	v_fmac_f32_e32 v4, v39, v12
	v_fmac_f32_e32 v11, v92, v12
	v_fma_f32 v12, v95, v14, -v57
	v_fmac_f32_e32 v15, v96, v14
	v_add_f32_e32 v14, v103, v16
	v_fmac_f32_e32 v117, v76, v2
	v_fma_f32 v2, v83, v20, -v128
	v_fma_f32 v5, v85, v18, -v23
	;; [unrolled: 1-line block ×3, first 2 shown]
	v_fmac_f32_e32 v25, v62, v24
	v_fma_f32 v3, v87, v22, -v129
	v_fmac_f32_e32 v8, v88, v22
	v_add_f32_e32 v20, v98, v9
	v_sub_f32_e32 v22, v16, v0
	v_add_f32_e32 v24, v0, v28
	v_sub_f32_e32 v31, v4, v121
	v_sub_f32_e32 v35, v123, v125
	;; [unrolled: 1-line block ×4, first 2 shown]
	v_add_f32_e32 v16, v16, v72
	v_sub_f32_e32 v80, v7, v6
	v_sub_f32_e32 v81, v59, v60
	v_sub_f32_e32 v82, v17, v9
	v_sub_f32_e32 v83, v113, v114
	v_add_f32_e32 v85, v100, v11
	v_sub_f32_e32 v87, v10, v12
	v_sub_f32_e32 v90, v70, v69
	v_add_f32_e32 v139, v14, v0
	v_add_f32_e32 v14, v43, v21
	v_fmac_f32_e32 v27, v66, v26
	v_fmac_f32_e32 v34, v86, v18
	v_add_f32_e32 v18, v104, v4
	v_add_f32_e32 v19, v97, v6
	v_sub_f32_e32 v23, v72, v28
	v_add_f32_e32 v26, v121, v125
	v_add_f32_e32 v57, v7, v59
	;; [unrolled: 1-line block ×6, first 2 shown]
	v_sub_f32_e32 v122, v1, v5
	v_sub_f32_e32 v124, v5, v1
	v_add_f32_e32 v130, v1, v108
	v_sub_f32_e32 v131, v1, v108
	v_add_f32_e32 v1, v42, v2
	v_sub_f32_e32 v38, v6, v7
	v_sub_f32_e32 v39, v60, v59
	;; [unrolled: 1-line block ×11, first 2 shown]
	v_add_f32_e32 v4, v4, v123
	v_add_f32_e32 v6, v6, v60
	;; [unrolled: 1-line block ×3, first 2 shown]
	v_sub_f32_e32 v88, v12, v10
	v_sub_f32_e32 v91, v69, v70
	v_add_f32_e32 v92, v10, v70
	v_sub_f32_e32 v93, v10, v70
	v_sub_f32_e32 v94, v15, v115
	v_add_f32_e32 v10, v15, v115
	;; [unrolled: 3-line block ×3, first 2 shown]
	v_sub_f32_e32 v128, v108, v32
	v_add_f32_e32 v17, v20, v17
	v_sub_f32_e32 v20, v3, v2
	v_add_f32_e32 v85, v85, v15
	v_sub_f32_e32 v15, v33, v106
	v_fma_f32 v0, -0.5, v24, v103
	v_add_f32_e32 v146, v31, v35
	v_add_f32_e32 v24, v14, v8
	v_sub_f32_e32 v14, v8, v21
	v_fma_f32 v103, -0.5, v16, v103
	v_sub_f32_e32 v16, v109, v110
	v_add_f32_e32 v31, v36, v13
	v_add_f32_e32 v80, v80, v81
	;; [unrolled: 1-line block ×5, first 2 shown]
	v_sub_f32_e32 v75, v121, v125
	v_add_f32_e32 v86, v12, v69
	v_sub_f32_e32 v89, v12, v69
	v_sub_f32_e32 v112, v115, v117
	;; [unrolled: 1-line block ×3, first 2 shown]
	v_add_f32_e32 v133, v34, v107
	v_sub_f32_e32 v134, v127, v34
	v_sub_f32_e32 v135, v34, v127
	v_add_f32_e32 v18, v18, v121
	v_add_f32_e32 v121, v3, v33
	;; [unrolled: 1-line block ×3, first 2 shown]
	v_sub_f32_e32 v140, v2, v3
	v_add_f32_e32 v84, v84, v12
	v_sub_f32_e32 v141, v3, v33
	v_sub_f32_e32 v12, v106, v33
	v_add_f32_e32 v34, v118, v34
	v_add_f32_e32 v118, v2, v106
	v_sub_f32_e32 v142, v2, v106
	v_add_f32_e32 v143, v1, v3
	v_add_f32_e32 v145, v22, v23
	v_fma_f32 v1, -0.5, v26, v104
	v_add_f32_e32 v22, v8, v109
	v_sub_f32_e32 v23, v21, v8
	v_fma_f32 v2, -0.5, v57, v97
	v_fma_f32 v3, -0.5, v58, v98
	v_sub_f32_e32 v26, v110, v109
	v_add_f32_e32 v35, v65, v30
	v_add_f32_e32 v58, v13, v71
	v_sub_f32_e32 v78, v7, v59
	v_sub_f32_e32 v101, v11, v117
	v_add_f32_e32 v11, v11, v117
	v_sub_f32_e32 v126, v5, v32
	v_sub_f32_e32 v136, v127, v111
	v_add_f32_e32 v127, v127, v111
	v_add_f32_e32 v116, v116, v5
	v_sub_f32_e32 v144, v8, v109
	v_add_f32_e32 v147, v38, v39
	v_sub_f32_e32 v148, v21, v110
	v_add_f32_e32 v21, v21, v110
	v_add_f32_e32 v149, v61, v62
	;; [unrolled: 1-line block ×3, first 2 shown]
	v_fmac_f32_e32 v104, -0.5, v4
	v_fma_f32 v4, -0.5, v6, v97
	v_fma_f32 v5, -0.5, v9, v98
	v_sub_f32_e32 v39, v65, v13
	v_add_f32_e32 v83, v88, v91
	v_sub_f32_e32 v61, v30, v71
	v_add_f32_e32 v62, v27, v29
	v_sub_f32_e32 v63, v25, v27
	v_sub_f32_e32 v64, v119, v29
	v_add_f32_e32 v88, v122, v128
	v_fma_f32 v8, -0.5, v120, v40
	v_add_f32_e32 v120, v20, v15
	v_add_f32_e32 v122, v14, v16
	;; [unrolled: 1-line block ×4, first 2 shown]
	v_sub_f32_e32 v79, v125, v123
	v_sub_f32_e32 v129, v32, v108
	;; [unrolled: 1-line block ×4, first 2 shown]
	v_add_f32_e32 v87, v96, v112
	v_add_f32_e32 v98, v140, v12
	v_fma_f32 v12, -0.5, v121, v42
	v_sub_f32_e32 v112, v13, v71
	v_fma_f32 v13, -0.5, v22, v43
	v_add_f32_e32 v121, v23, v26
	v_fma_f32 v14, -0.5, v35, v36
	v_fma_f32 v36, -0.5, v58, v36
	v_add_f32_e32 v58, v18, v125
	v_add_f32_e32 v59, v19, v59
	v_fmamk_f32 v18, v67, 0x3f737871, v0
	v_fmamk_f32 v19, v68, 0xbf737871, v1
	;; [unrolled: 1-line block ×4, first 2 shown]
	v_fma_f32 v7, -0.5, v10, v100
	v_fmac_f32_e32 v100, -0.5, v11
	v_fma_f32 v11, -0.5, v127, v41
	v_fmac_f32_e32 v43, -0.5, v21
	v_add_f32_e32 v127, v39, v61
	v_fma_f32 v15, -0.5, v62, v37
	v_add_f32_e32 v128, v63, v64
	v_add_f32_e32 v61, v17, v113
	;; [unrolled: 1-line block ×6, first 2 shown]
	v_fmamk_f32 v16, v75, 0xbf737871, v103
	v_fmamk_f32 v17, v76, 0x3f737871, v104
	;; [unrolled: 1-line block ×4, first 2 shown]
	v_fmac_f32_e32 v103, 0x3f737871, v75
	v_fmac_f32_e32 v104, 0xbf737871, v76
	;; [unrolled: 1-line block ×8, first 2 shown]
	v_sub_f32_e32 v102, v117, v115
	v_add_f32_e32 v79, v66, v79
	v_fma_f32 v6, -0.5, v86, v99
	v_fma_f32 v99, -0.5, v92, v99
	v_add_f32_e32 v66, v25, v119
	v_add_f32_e32 v91, v124, v129
	v_fma_f32 v10, -0.5, v130, v40
	v_add_f32_e32 v124, v38, v57
	v_add_f32_e32 v57, v139, v28
	v_fmac_f32_e32 v18, 0x3f167918, v75
	v_fmac_f32_e32 v19, 0xbf167918, v76
	;; [unrolled: 1-line block ×4, first 2 shown]
	v_fma_f32 v9, -0.5, v133, v41
	v_fma_f32 v42, -0.5, v118, v42
	v_fmac_f32_e32 v16, 0x3f167918, v67
	v_fmac_f32_e32 v17, 0xbf167918, v68
	;; [unrolled: 1-line block ×12, first 2 shown]
	v_sub_f32_e32 v138, v107, v111
	v_add_f32_e32 v86, v95, v102
	v_sub_f32_e32 v92, v27, v25
	v_sub_f32_e32 v97, v65, v30
	;; [unrolled: 1-line block ×3, first 2 shown]
	v_fmac_f32_e32 v37, -0.5, v66
	v_add_f32_e32 v64, v116, v32
	v_add_f32_e32 v66, v143, v33
	v_fmamk_f32 v26, v94, 0xbf737871, v99
	v_fmac_f32_e32 v99, 0x3f737871, v94
	v_fmamk_f32 v27, v89, 0x3f737871, v100
	v_fmac_f32_e32 v100, 0xbf737871, v89
	v_fmamk_f32 v30, v132, 0xbf737871, v10
	v_fmac_f32_e32 v10, 0x3f737871, v132
	v_fmamk_f32 v31, v126, 0x3f737871, v11
	v_fmac_f32_e32 v11, 0xbf737871, v126
	v_fmamk_f32 v32, v148, 0x3f737871, v12
	v_fmamk_f32 v33, v142, 0xbf737871, v13
	v_add_f32_e32 v57, v57, v72
	v_add_f32_e32 v58, v58, v123
	;; [unrolled: 1-line block ×4, first 2 shown]
	v_fmac_f32_e32 v18, 0x3e9e377a, v145
	v_fmac_f32_e32 v19, 0x3e9e377a, v146
	;; [unrolled: 1-line block ×4, first 2 shown]
	v_sub_f32_e32 v137, v111, v107
	v_sub_f32_e32 v40, v29, v119
	;; [unrolled: 1-line block ×3, first 2 shown]
	v_add_f32_e32 v65, v34, v107
	v_add_f32_e32 v69, v24, v109
	v_fmamk_f32 v24, v101, 0x3f737871, v6
	v_fmac_f32_e32 v6, 0xbf737871, v101
	v_fmamk_f32 v25, v93, 0xbf737871, v7
	v_fmac_f32_e32 v7, 0x3f737871, v93
	;; [unrolled: 2-line block ×6, first 2 shown]
	v_fmac_f32_e32 v16, 0x3e9e377a, v150
	v_fmac_f32_e32 v17, 0x3e9e377a, v79
	;; [unrolled: 1-line block ×14, first 2 shown]
	v_add_f32_e32 v96, v135, v138
	v_fmac_f32_e32 v26, 0x3f167918, v101
	v_fmac_f32_e32 v99, 0xbf167918, v101
	;; [unrolled: 1-line block ×10, first 2 shown]
	ds_write2_b64 v45, v[57:58], v[59:60] offset1:5
	ds_write2_b64 v45, v[18:19], v[22:23] offset0:10 offset1:15
	ds_write2_b64 v45, v[16:17], v[20:21] offset0:20 offset1:25
	;; [unrolled: 1-line block ×4, first 2 shown]
	v_lshlrev_b32_sdwa v0, v105, v48 dst_sel:DWORD dst_unused:UNUSED_PAD src0_sel:DWORD src1_sel:BYTE_0
	v_add_f32_e32 v95, v134, v137
	v_fmamk_f32 v38, v118, 0x3f737871, v14
	v_fmac_f32_e32 v14, 0xbf737871, v118
	v_fmamk_f32 v39, v112, 0xbf737871, v15
	v_fmac_f32_e32 v15, 0x3f737871, v112
	v_fmac_f32_e32 v24, 0x3f167918, v94
	;; [unrolled: 1-line block ×13, first 2 shown]
	v_add_f32_e32 v92, v92, v40
	v_fmamk_f32 v40, v102, 0xbf737871, v36
	v_fmac_f32_e32 v36, 0x3f737871, v102
	v_fmamk_f32 v41, v97, 0x3f737871, v37
	v_fmac_f32_e32 v37, 0xbf737871, v97
	v_fmac_f32_e32 v12, 0xbf167918, v144
	;; [unrolled: 1-line block ×3, first 2 shown]
	v_add_f32_e32 v61, v62, v70
	v_add_f32_e32 v62, v63, v117
	;; [unrolled: 1-line block ×6, first 2 shown]
	v_fmac_f32_e32 v26, 0x3e9e377a, v83
	v_fmac_f32_e32 v99, 0x3e9e377a, v83
	;; [unrolled: 1-line block ×10, first 2 shown]
	v_lshlrev_b32_sdwa v1, v105, v56 dst_sel:DWORD dst_unused:UNUSED_PAD src0_sel:DWORD src1_sel:BYTE_0
	v_add3_u32 v0, 0, v0, v52
	v_lshlrev_b32_e32 v48, 1, v44
	v_fmac_f32_e32 v38, 0x3f167918, v102
	v_fmac_f32_e32 v14, 0xbf167918, v102
	;; [unrolled: 1-line block ×22, first 2 shown]
	ds_write2_b64 v45, v[61:62], v[63:64] offset0:50 offset1:55
	ds_write2_b64 v45, v[24:25], v[28:29] offset0:60 offset1:65
	;; [unrolled: 1-line block ×5, first 2 shown]
	v_add3_u32 v4, 0, v1, v52
	ds_write2_b64 v0, v[65:66], v[32:33] offset0:100 offset1:110
	ds_write2_b64 v0, v[34:35], v[42:43] offset0:120 offset1:130
	ds_write_b64 v0, v[12:13] offset:1120
	v_add_nc_u32_e32 v0, 20, v48
	v_mov_b32_e32 v1, v49
	v_add_f32_e32 v67, v84, v71
	v_add_f32_e32 v68, v85, v119
	v_fmac_f32_e32 v38, 0x3e9e377a, v124
	v_fmac_f32_e32 v14, 0x3e9e377a, v124
	;; [unrolled: 1-line block ×8, first 2 shown]
	v_add_nc_u32_e32 v2, 30, v48
	v_mov_b32_e32 v3, v49
	v_lshlrev_b64 v[0:1], 3, v[0:1]
	ds_write2_b64 v4, v[67:68], v[38:39] offset0:100 offset1:110
	ds_write2_b64 v4, v[40:41], v[36:37] offset0:120 offset1:130
	ds_write_b64 v4, v[14:15] offset:1120
	v_lshlrev_b32_e32 v4, 1, v55
	v_mov_b32_e32 v5, v49
	v_lshlrev_b64 v[2:3], 3, v[2:3]
	v_lshlrev_b32_e32 v6, 1, v54
	v_mov_b32_e32 v7, v49
	v_add_co_u32 v0, s0, s8, v0
	v_lshlrev_b64 v[4:5], 3, v[4:5]
	v_add_co_ci_u32_e64 v1, s0, s9, v1, s0
	v_add_co_u32 v2, s0, s8, v2
	v_lshlrev_b64 v[6:7], 3, v[6:7]
	v_add_co_ci_u32_e64 v3, s0, s9, v3, s0
	v_add_co_u32 v4, s0, s8, v4
	v_add_co_ci_u32_e64 v5, s0, s9, v5, s0
	v_add_nc_u32_e32 v16, 60, v48
	v_mov_b32_e32 v17, v49
	v_add_co_u32 v6, s0, s8, v6
	v_add_co_ci_u32_e64 v7, s0, s9, v7, s0
	v_add_nc_u32_e32 v24, 0x46, v48
	v_mov_b32_e32 v25, v49
	s_waitcnt lgkmcnt(0)
	s_barrier
	buffer_gl0_inv
	s_clause 0x1
	global_load_dwordx4 v[8:11], v[0:1], off offset:320
	global_load_dwordx4 v[12:15], v[2:3], off offset:320
	v_lshlrev_b64 v[0:1], 3, v[16:17]
	s_clause 0x1
	global_load_dwordx4 v[16:19], v[4:5], off offset:320
	global_load_dwordx4 v[20:23], v[6:7], off offset:320
	v_mov_b32_e32 v5, v49
	v_or_b32_e32 v4, 0x50, v48
	v_lshlrev_b64 v[2:3], 3, v[24:25]
	v_lshlrev_b64 v[6:7], 3, v[48:49]
	v_add_nc_u32_e32 v48, 0x5a, v48
	v_add_co_u32 v0, s0, s8, v0
	v_lshlrev_b64 v[4:5], 3, v[4:5]
	v_add_co_ci_u32_e64 v1, s0, s9, v1, s0
	v_add_co_u32 v2, s0, s8, v2
	v_lshlrev_b64 v[24:25], 3, v[48:49]
	v_add_co_ci_u32_e64 v3, s0, s9, v3, s0
	v_add_co_u32 v4, s0, s8, v4
	v_add_co_ci_u32_e64 v5, s0, s9, v5, s0
	v_lshlrev_b32_e32 v40, 1, v53
	v_mov_b32_e32 v41, v49
	v_add_co_u32 v36, s0, s8, v24
	v_add_co_ci_u32_e64 v37, s0, s9, v25, s0
	s_clause 0x3
	global_load_dwordx4 v[24:27], v[0:1], off offset:320
	global_load_dwordx4 v[28:31], v[2:3], off offset:320
	;; [unrolled: 1-line block ×4, first 2 shown]
	v_lshlrev_b64 v[0:1], 3, v[40:41]
	v_add_co_u32 v2, s0, s8, v6
	v_add_co_ci_u32_e64 v3, s0, s9, v7, s0
	v_add_co_u32 v0, s0, s8, v0
	v_add_co_ci_u32_e64 v1, s0, s9, v1, s0
	s_clause 0x1
	global_load_dwordx4 v[40:43], v[2:3], off offset:320
	global_load_dwordx4 v[52:55], v[0:1], off offset:320
	ds_read2_b64 v[56:59], v45 offset0:60 offset1:65
	ds_read2_b64 v[60:63], v45 offset0:110 offset1:115
	;; [unrolled: 1-line block ×9, first 2 shown]
	ds_read2_b32 v[104:105], v45 offset0:110 offset1:111
	ds_read2_b64 v[0:3], v45 offset0:45 offset1:50
	ds_read_b64 v[106:107], v51
	ds_read2_b64 v[4:7], v45 offset0:5 offset1:10
	ds_read2_b64 v[92:95], v45 offset0:15 offset1:20
	;; [unrolled: 1-line block ×4, first 2 shown]
	s_waitcnt vmcnt(0) lgkmcnt(0)
	s_barrier
	buffer_gl0_inv
	v_mul_f32_e32 v48, v57, v9
	v_mul_f32_e32 v9, v56, v9
	;; [unrolled: 1-line block ×16, first 2 shown]
	v_fma_f32 v48, v56, v8, -v48
	v_fmac_f32_e32 v9, v57, v8
	v_fma_f32 v51, v60, v10, -v51
	v_fmac_f32_e32 v11, v61, v10
	;; [unrolled: 2-line block ×3, first 2 shown]
	v_fmac_f32_e32 v15, v63, v14
	v_fmac_f32_e32 v17, v65, v16
	;; [unrolled: 1-line block ×4, first 2 shown]
	v_mul_f32_e32 v114, v73, v25
	v_mul_f32_e32 v25, v72, v25
	;; [unrolled: 1-line block ×24, first 2 shown]
	v_fma_f32 v41, v62, v14, -v109
	v_fma_f32 v14, v64, v16, -v110
	;; [unrolled: 1-line block ×5, first 2 shown]
	v_fmac_f32_e32 v23, v71, v22
	v_fma_f32 v22, v72, v24, -v114
	v_fmac_f32_e32 v25, v73, v24
	v_fma_f32 v24, v76, v26, -v115
	;; [unrolled: 2-line block ×10, first 2 shown]
	v_fma_f32 v2, v40, v2, -v55
	v_fmac_f32_e32 v12, v40, v3
	v_fma_f32 v3, v52, v104, -v8
	v_fmac_f32_e32 v53, v105, v52
	v_fmac_f32_e32 v10, v91, v54
	v_add_f32_e32 v8, v106, v2
	v_add_f32_e32 v40, v107, v12
	;; [unrolled: 1-line block ×6, first 2 shown]
	v_sub_f32_e32 v64, v53, v10
	v_add_f32_e32 v53, v53, v10
	v_add_f32_e32 v65, v3, v42
	;; [unrolled: 1-line block ×11, first 2 shown]
	v_sub_f32_e32 v75, v17, v19
	v_add_f32_e32 v76, v17, v19
	v_add_f32_e32 v17, v97, v21
	v_sub_f32_e32 v79, v21, v23
	v_add_f32_e32 v80, v21, v23
	v_add_f32_e32 v21, v96, v18
	v_add_f32_e32 v81, v18, v20
	v_sub_f32_e32 v82, v18, v20
	v_add_f32_e32 v18, v99, v25
	v_sub_f32_e32 v83, v25, v27
	v_add_f32_e32 v84, v25, v27
	v_add_f32_e32 v25, v98, v22
	v_add_f32_e32 v85, v22, v24
	v_sub_f32_e32 v86, v22, v24
	;; [unrolled: 6-line block ×3, first 2 shown]
	v_add_f32_e32 v26, v103, v33
	v_sub_f32_e32 v60, v12, v43
	v_sub_f32_e32 v63, v2, v38
	;; [unrolled: 1-line block ×4, first 2 shown]
	v_add_f32_e32 v74, v94, v14
	v_add_f32_e32 v77, v14, v16
	v_sub_f32_e32 v91, v33, v35
	v_add_f32_e32 v33, v33, v35
	v_add_f32_e32 v104, v102, v30
	;; [unrolled: 1-line block ×3, first 2 shown]
	v_sub_f32_e32 v108, v30, v32
	v_add_f32_e32 v30, v1, v37
	v_sub_f32_e32 v109, v37, v39
	v_add_f32_e32 v37, v37, v39
	v_add_f32_e32 v111, v34, v36
	;; [unrolled: 1-line block ×6, first 2 shown]
	v_fma_f32 v106, -0.5, v62, v106
	v_fmac_f32_e32 v107, -0.5, v61
	v_fma_f32 v4, -0.5, v65, v4
	v_fma_f32 v5, -0.5, v53, v5
	v_sub_f32_e32 v71, v13, v15
	v_add_f32_e32 v10, v55, v51
	v_add_f32_e32 v11, v57, v11
	;; [unrolled: 1-line block ×4, first 2 shown]
	v_sub_f32_e32 v48, v48, v51
	v_sub_f32_e32 v56, v56, v41
	v_add_f32_e32 v15, v73, v19
	v_add_f32_e32 v17, v17, v23
	v_add_f32_e32 v19, v18, v27
	v_add_f32_e32 v23, v26, v35
	v_fma_f32 v6, -0.5, v67, v6
	v_fmac_f32_e32 v7, -0.5, v69
	v_fma_f32 v26, -0.5, v70, v92
	v_fma_f32 v27, -0.5, v72, v93
	v_sub_f32_e32 v78, v14, v16
	v_add_f32_e32 v110, v0, v34
	v_sub_f32_e32 v112, v34, v36
	v_add_f32_e32 v14, v74, v16
	v_add_f32_e32 v16, v21, v20
	;; [unrolled: 1-line block ×6, first 2 shown]
	v_fma_f32 v94, -0.5, v77, v94
	v_fmac_f32_e32 v95, -0.5, v76
	v_fma_f32 v28, -0.5, v81, v96
	v_fma_f32 v29, -0.5, v80, v97
	;; [unrolled: 1-line block ×3, first 2 shown]
	v_fmac_f32_e32 v99, -0.5, v84
	v_fma_f32 v30, -0.5, v89, v100
	v_fma_f32 v31, -0.5, v88, v101
	;; [unrolled: 1-line block ×3, first 2 shown]
	v_fmac_f32_e32 v103, -0.5, v33
	v_fma_f32 v0, -0.5, v111, v0
	v_fmac_f32_e32 v1, -0.5, v37
	ds_write2_b64 v45, v[2:3], v[8:9] offset1:5
	ds_write2_b64 v45, v[10:11], v[12:13] offset0:10 offset1:15
	v_fmamk_f32 v2, v60, 0x3f5db3d7, v106
	v_fmamk_f32 v3, v63, 0xbf5db3d7, v107
	;; [unrolled: 1-line block ×4, first 2 shown]
	v_fmac_f32_e32 v106, 0xbf5db3d7, v60
	v_fmac_f32_e32 v107, 0x3f5db3d7, v63
	;; [unrolled: 1-line block ×4, first 2 shown]
	v_fmamk_f32 v10, v68, 0x3f5db3d7, v6
	v_fmamk_f32 v11, v48, 0xbf5db3d7, v7
	;; [unrolled: 1-line block ×4, first 2 shown]
	v_fmac_f32_e32 v6, 0xbf5db3d7, v68
	v_fmac_f32_e32 v7, 0x3f5db3d7, v48
	;; [unrolled: 1-line block ×4, first 2 shown]
	v_add_f32_e32 v22, v104, v32
	v_add_f32_e32 v24, v110, v36
	v_fmamk_f32 v32, v75, 0x3f5db3d7, v94
	v_fmac_f32_e32 v94, 0xbf5db3d7, v75
	v_fmamk_f32 v33, v78, 0xbf5db3d7, v95
	v_fmac_f32_e32 v95, 0x3f5db3d7, v78
	;; [unrolled: 2-line block ×12, first 2 shown]
	ds_write2_b64 v45, v[2:3], v[8:9] offset0:50 offset1:55
	ds_write2_b64 v45, v[106:107], v[4:5] offset0:100 offset1:105
	;; [unrolled: 1-line block ×13, first 2 shown]
	s_waitcnt lgkmcnt(0)
	s_barrier
	buffer_gl0_inv
	s_and_saveexec_b32 s0, vcc_lo
	s_cbranch_execz .LBB0_18
; %bb.17:
	v_lshl_add_u32 v20, v44, 3, v50
	v_add_nc_u32_e32 v48, 5, v44
	v_mov_b32_e32 v45, v49
	v_add_co_u32 v21, vcc_lo, s2, v46
	ds_read2_b64 v[0:3], v20 offset1:5
	v_lshlrev_b64 v[12:13], 3, v[48:49]
	v_add_nc_u32_e32 v48, 10, v44
	v_lshlrev_b64 v[14:15], 3, v[44:45]
	v_add_co_ci_u32_e32 v22, vcc_lo, s3, v47, vcc_lo
	ds_read2_b64 v[4:7], v20 offset0:10 offset1:15
	ds_read2_b64 v[8:11], v20 offset0:20 offset1:25
	v_lshlrev_b64 v[16:17], 3, v[48:49]
	v_add_nc_u32_e32 v48, 15, v44
	v_add_co_u32 v14, vcc_lo, v21, v14
	v_add_co_ci_u32_e32 v15, vcc_lo, v22, v15, vcc_lo
	v_lshlrev_b64 v[18:19], 3, v[48:49]
	v_add_nc_u32_e32 v48, 20, v44
	v_add_co_u32 v12, vcc_lo, v21, v12
	v_add_co_ci_u32_e32 v13, vcc_lo, v22, v13, vcc_lo
	s_waitcnt lgkmcnt(2)
	global_store_dwordx2 v[14:15], v[0:1], off
	v_add_co_u32 v0, vcc_lo, v21, v16
	v_lshlrev_b64 v[14:15], 3, v[48:49]
	v_add_nc_u32_e32 v48, 25, v44
	v_add_co_ci_u32_e32 v1, vcc_lo, v22, v17, vcc_lo
	v_add_co_u32 v16, vcc_lo, v21, v18
	v_add_co_ci_u32_e32 v17, vcc_lo, v22, v19, vcc_lo
	v_lshlrev_b64 v[18:19], 3, v[48:49]
	v_add_nc_u32_e32 v48, 30, v44
	v_add_co_u32 v14, vcc_lo, v21, v14
	v_add_co_ci_u32_e32 v15, vcc_lo, v22, v15, vcc_lo
	global_store_dwordx2 v[12:13], v[2:3], off
	s_waitcnt lgkmcnt(1)
	global_store_dwordx2 v[0:1], v[4:5], off
	global_store_dwordx2 v[16:17], v[6:7], off
	s_waitcnt lgkmcnt(0)
	global_store_dwordx2 v[14:15], v[8:9], off
	v_lshlrev_b64 v[8:9], 3, v[48:49]
	v_add_nc_u32_e32 v48, 35, v44
	ds_read2_b64 v[0:3], v20 offset0:30 offset1:35
	ds_read2_b64 v[4:7], v20 offset0:40 offset1:45
	v_add_co_u32 v12, vcc_lo, v21, v18
	v_lshlrev_b64 v[14:15], 3, v[48:49]
	v_add_nc_u32_e32 v48, 40, v44
	v_add_co_ci_u32_e32 v13, vcc_lo, v22, v19, vcc_lo
	v_add_co_u32 v8, vcc_lo, v21, v8
	v_lshlrev_b64 v[16:17], 3, v[48:49]
	v_add_nc_u32_e32 v48, 45, v44
	v_add_co_ci_u32_e32 v9, vcc_lo, v22, v9, vcc_lo
	v_add_co_u32 v14, vcc_lo, v21, v14
	v_add_co_ci_u32_e32 v15, vcc_lo, v22, v15, vcc_lo
	v_lshlrev_b64 v[18:19], 3, v[48:49]
	v_add_nc_u32_e32 v48, 50, v44
	v_add_co_u32 v16, vcc_lo, v21, v16
	v_add_co_ci_u32_e32 v17, vcc_lo, v22, v17, vcc_lo
	global_store_dwordx2 v[12:13], v[10:11], off
	s_waitcnt lgkmcnt(1)
	global_store_dwordx2 v[8:9], v[0:1], off
	global_store_dwordx2 v[14:15], v[2:3], off
	s_waitcnt lgkmcnt(0)
	global_store_dwordx2 v[16:17], v[4:5], off
	v_lshlrev_b64 v[4:5], 3, v[48:49]
	v_add_nc_u32_e32 v48, 55, v44
	ds_read2_b64 v[0:3], v20 offset0:50 offset1:55
	ds_read2_b64 v[8:11], v20 offset0:60 offset1:65
	v_add_co_u32 v12, vcc_lo, v21, v18
	v_lshlrev_b64 v[14:15], 3, v[48:49]
	v_add_nc_u32_e32 v48, 60, v44
	v_add_co_ci_u32_e32 v13, vcc_lo, v22, v19, vcc_lo
	;; [unrolled: 24-line block ×6, first 2 shown]
	v_add_co_u32 v4, vcc_lo, v21, v4
	v_lshlrev_b64 v[16:17], 3, v[48:49]
	v_add_nc_u32_e32 v48, 0x91, v44
	v_add_co_ci_u32_e32 v5, vcc_lo, v22, v5, vcc_lo
	v_add_co_u32 v14, vcc_lo, v21, v14
	v_lshlrev_b64 v[18:19], 3, v[48:49]
	v_add_co_ci_u32_e32 v15, vcc_lo, v22, v15, vcc_lo
	v_add_co_u32 v16, vcc_lo, v21, v16
	v_add_co_ci_u32_e32 v17, vcc_lo, v22, v17, vcc_lo
	v_add_co_u32 v18, vcc_lo, v21, v18
	v_add_co_ci_u32_e32 v19, vcc_lo, v22, v19, vcc_lo
	global_store_dwordx2 v[12:13], v[6:7], off
	s_waitcnt lgkmcnt(1)
	global_store_dwordx2 v[4:5], v[0:1], off
	global_store_dwordx2 v[14:15], v[2:3], off
	s_waitcnt lgkmcnt(0)
	global_store_dwordx2 v[16:17], v[8:9], off
	global_store_dwordx2 v[18:19], v[10:11], off
.LBB0_18:
	s_endpgm
	.section	.rodata,"a",@progbits
	.p2align	6, 0x0
	.amdhsa_kernel fft_rtc_fwd_len150_factors_10_5_3_wgs_60_tpt_5_halfLds_sp_ip_CI_unitstride_sbrr_C2R_dirReg
		.amdhsa_group_segment_fixed_size 0
		.amdhsa_private_segment_fixed_size 0
		.amdhsa_kernarg_size 88
		.amdhsa_user_sgpr_count 6
		.amdhsa_user_sgpr_private_segment_buffer 1
		.amdhsa_user_sgpr_dispatch_ptr 0
		.amdhsa_user_sgpr_queue_ptr 0
		.amdhsa_user_sgpr_kernarg_segment_ptr 1
		.amdhsa_user_sgpr_dispatch_id 0
		.amdhsa_user_sgpr_flat_scratch_init 0
		.amdhsa_user_sgpr_private_segment_size 0
		.amdhsa_wavefront_size32 1
		.amdhsa_uses_dynamic_stack 0
		.amdhsa_system_sgpr_private_segment_wavefront_offset 0
		.amdhsa_system_sgpr_workgroup_id_x 1
		.amdhsa_system_sgpr_workgroup_id_y 0
		.amdhsa_system_sgpr_workgroup_id_z 0
		.amdhsa_system_sgpr_workgroup_info 0
		.amdhsa_system_vgpr_workitem_id 0
		.amdhsa_next_free_vgpr 151
		.amdhsa_next_free_sgpr 21
		.amdhsa_reserve_vcc 1
		.amdhsa_reserve_flat_scratch 0
		.amdhsa_float_round_mode_32 0
		.amdhsa_float_round_mode_16_64 0
		.amdhsa_float_denorm_mode_32 3
		.amdhsa_float_denorm_mode_16_64 3
		.amdhsa_dx10_clamp 1
		.amdhsa_ieee_mode 1
		.amdhsa_fp16_overflow 0
		.amdhsa_workgroup_processor_mode 1
		.amdhsa_memory_ordered 1
		.amdhsa_forward_progress 0
		.amdhsa_shared_vgpr_count 0
		.amdhsa_exception_fp_ieee_invalid_op 0
		.amdhsa_exception_fp_denorm_src 0
		.amdhsa_exception_fp_ieee_div_zero 0
		.amdhsa_exception_fp_ieee_overflow 0
		.amdhsa_exception_fp_ieee_underflow 0
		.amdhsa_exception_fp_ieee_inexact 0
		.amdhsa_exception_int_div_zero 0
	.end_amdhsa_kernel
	.text
.Lfunc_end0:
	.size	fft_rtc_fwd_len150_factors_10_5_3_wgs_60_tpt_5_halfLds_sp_ip_CI_unitstride_sbrr_C2R_dirReg, .Lfunc_end0-fft_rtc_fwd_len150_factors_10_5_3_wgs_60_tpt_5_halfLds_sp_ip_CI_unitstride_sbrr_C2R_dirReg
                                        ; -- End function
	.section	.AMDGPU.csdata,"",@progbits
; Kernel info:
; codeLenInByte = 12840
; NumSgprs: 23
; NumVgprs: 151
; ScratchSize: 0
; MemoryBound: 0
; FloatMode: 240
; IeeeMode: 1
; LDSByteSize: 0 bytes/workgroup (compile time only)
; SGPRBlocks: 2
; VGPRBlocks: 18
; NumSGPRsForWavesPerEU: 23
; NumVGPRsForWavesPerEU: 151
; Occupancy: 6
; WaveLimiterHint : 1
; COMPUTE_PGM_RSRC2:SCRATCH_EN: 0
; COMPUTE_PGM_RSRC2:USER_SGPR: 6
; COMPUTE_PGM_RSRC2:TRAP_HANDLER: 0
; COMPUTE_PGM_RSRC2:TGID_X_EN: 1
; COMPUTE_PGM_RSRC2:TGID_Y_EN: 0
; COMPUTE_PGM_RSRC2:TGID_Z_EN: 0
; COMPUTE_PGM_RSRC2:TIDIG_COMP_CNT: 0
	.text
	.p2alignl 6, 3214868480
	.fill 48, 4, 3214868480
	.type	__hip_cuid_bec742cd6311cece,@object ; @__hip_cuid_bec742cd6311cece
	.section	.bss,"aw",@nobits
	.globl	__hip_cuid_bec742cd6311cece
__hip_cuid_bec742cd6311cece:
	.byte	0                               ; 0x0
	.size	__hip_cuid_bec742cd6311cece, 1

	.ident	"AMD clang version 19.0.0git (https://github.com/RadeonOpenCompute/llvm-project roc-6.4.0 25133 c7fe45cf4b819c5991fe208aaa96edf142730f1d)"
	.section	".note.GNU-stack","",@progbits
	.addrsig
	.addrsig_sym __hip_cuid_bec742cd6311cece
	.amdgpu_metadata
---
amdhsa.kernels:
  - .args:
      - .actual_access:  read_only
        .address_space:  global
        .offset:         0
        .size:           8
        .value_kind:     global_buffer
      - .offset:         8
        .size:           8
        .value_kind:     by_value
      - .actual_access:  read_only
        .address_space:  global
        .offset:         16
        .size:           8
        .value_kind:     global_buffer
      - .actual_access:  read_only
        .address_space:  global
        .offset:         24
        .size:           8
        .value_kind:     global_buffer
      - .offset:         32
        .size:           8
        .value_kind:     by_value
      - .actual_access:  read_only
        .address_space:  global
        .offset:         40
        .size:           8
        .value_kind:     global_buffer
      - .actual_access:  read_only
        .address_space:  global
        .offset:         48
        .size:           8
        .value_kind:     global_buffer
      - .offset:         56
        .size:           4
        .value_kind:     by_value
      - .actual_access:  read_only
        .address_space:  global
        .offset:         64
        .size:           8
        .value_kind:     global_buffer
      - .actual_access:  read_only
        .address_space:  global
        .offset:         72
        .size:           8
        .value_kind:     global_buffer
      - .address_space:  global
        .offset:         80
        .size:           8
        .value_kind:     global_buffer
    .group_segment_fixed_size: 0
    .kernarg_segment_align: 8
    .kernarg_segment_size: 88
    .language:       OpenCL C
    .language_version:
      - 2
      - 0
    .max_flat_workgroup_size: 60
    .name:           fft_rtc_fwd_len150_factors_10_5_3_wgs_60_tpt_5_halfLds_sp_ip_CI_unitstride_sbrr_C2R_dirReg
    .private_segment_fixed_size: 0
    .sgpr_count:     23
    .sgpr_spill_count: 0
    .symbol:         fft_rtc_fwd_len150_factors_10_5_3_wgs_60_tpt_5_halfLds_sp_ip_CI_unitstride_sbrr_C2R_dirReg.kd
    .uniform_work_group_size: 1
    .uses_dynamic_stack: false
    .vgpr_count:     151
    .vgpr_spill_count: 0
    .wavefront_size: 32
    .workgroup_processor_mode: 1
amdhsa.target:   amdgcn-amd-amdhsa--gfx1030
amdhsa.version:
  - 1
  - 2
...

	.end_amdgpu_metadata
